;; amdgpu-corpus repo=ROCm/rocFFT kind=compiled arch=gfx1030 opt=O3
	.text
	.amdgcn_target "amdgcn-amd-amdhsa--gfx1030"
	.amdhsa_code_object_version 6
	.protected	fft_rtc_back_len112_factors_4_7_4_wgs_448_tpt_28_half_op_CI_CI_sbrc_z_xy_aligned_dirReg ; -- Begin function fft_rtc_back_len112_factors_4_7_4_wgs_448_tpt_28_half_op_CI_CI_sbrc_z_xy_aligned_dirReg
	.globl	fft_rtc_back_len112_factors_4_7_4_wgs_448_tpt_28_half_op_CI_CI_sbrc_z_xy_aligned_dirReg
	.p2align	8
	.type	fft_rtc_back_len112_factors_4_7_4_wgs_448_tpt_28_half_op_CI_CI_sbrc_z_xy_aligned_dirReg,@function
fft_rtc_back_len112_factors_4_7_4_wgs_448_tpt_28_half_op_CI_CI_sbrc_z_xy_aligned_dirReg: ; @fft_rtc_back_len112_factors_4_7_4_wgs_448_tpt_28_half_op_CI_CI_sbrc_z_xy_aligned_dirReg
; %bb.0:
	s_load_dwordx8 s[8:15], s[4:5], 0x0
	s_mov_b32 s21, 0
	v_mov_b32_e32 v4, 0
                                        ; implicit-def: $vgpr17
                                        ; implicit-def: $vgpr15
                                        ; implicit-def: $vgpr16
	s_waitcnt lgkmcnt(0)
	s_load_dwordx4 s[0:3], s[12:13], 0x8
	s_waitcnt lgkmcnt(0)
	s_add_i32 s0, s0, -1
	s_lshr_b32 s0, s0, 4
	s_add_i32 s1, s0, 1
	s_mul_i32 s2, s1, s2
	v_cvt_f32_u32_e32 v2, s1
	v_cvt_f32_u32_e32 v1, s2
	s_sub_i32 s7, 0, s2
	v_rcp_iflag_f32_e32 v2, v2
	v_rcp_iflag_f32_e32 v1, v1
	v_mul_f32_e32 v1, 0x4f7ffffe, v1
	v_cvt_u32_f32_e32 v1, v1
	v_readfirstlane_b32 s3, v1
	v_mul_f32_e32 v1, 0x4f7ffffe, v2
	v_mul_u32_u24_e32 v2, 0x24a, v0
	s_mul_i32 s7, s7, s3
	v_cvt_u32_f32_e32 v1, v1
	s_mul_hi_u32 s7, s3, s7
	v_lshrrev_b32_e32 v11, 16, v2
	s_add_i32 s3, s3, s7
	v_readfirstlane_b32 s16, v1
	s_mul_hi_u32 s3, s6, s3
	v_mul_lo_u16 v1, 0x70, v11
	s_mul_i32 s7, s3, s2
	s_add_i32 s12, s3, 1
	s_sub_i32 s7, s6, s7
	s_sub_i32 s13, s7, s2
	s_cmp_ge_u32 s7, s2
	v_sub_nc_u16 v10, v0, v1
	s_cselect_b32 s3, s12, s3
	s_cselect_b32 s7, s13, s7
	s_add_i32 s12, s3, 1
	s_cmp_ge_u32 s7, s2
	v_and_b32_e32 v3, 0xffff, v10
	s_cselect_b32 s12, s12, s3
	s_not_b32 s0, s0
	s_mul_i32 s2, s12, s2
	s_mul_i32 s0, s0, s16
	s_sub_i32 s2, s6, s2
	s_mul_hi_u32 s0, s16, s0
	s_add_i32 s0, s16, s0
	s_load_dwordx4 s[16:19], s[14:15], 0x0
	s_mul_hi_u32 s3, s2, s0
	s_waitcnt lgkmcnt(0)
	s_load_dword s19, s[14:15], 0x10
	s_mul_i32 s7, s3, s1
	s_mul_hi_u32 s0, s6, s0
	s_sub_i32 s2, s2, s7
	s_add_i32 s7, s3, 1
	s_sub_i32 s13, s2, s1
	s_cmp_ge_u32 s2, s1
	s_mul_i32 s0, s0, s1
	s_cselect_b32 s3, s7, s3
	s_cselect_b32 s2, s13, s2
	s_add_i32 s7, s3, 1
	s_cmp_ge_u32 s2, s1
	s_cselect_b32 s13, s7, s3
	s_sub_i32 s0, s6, s0
	s_sub_i32 s2, s0, s1
	s_cmp_ge_u32 s0, s1
	v_mad_u64_u32 v[1:2], null, s16, v3, 0
	s_cselect_b32 s0, s2, s0
	s_sub_i32 s2, s0, s1
	s_cmp_ge_u32 s0, s1
	s_cselect_b32 s0, s2, s0
	s_lshl_b64 s[6:7], s[10:11], 3
	s_lshl_b32 s16, s0, 4
	s_waitcnt lgkmcnt(0)
	s_mul_i32 s0, s13, s19
	s_mul_i32 s1, s16, s18
	v_mad_u64_u32 v[2:3], null, s17, v3, v[2:3]
	s_add_i32 s20, s1, s0
	s_add_u32 s0, s14, s6
	s_addc_u32 s1, s15, s7
	s_load_dwordx2 s[14:15], s[0:1], 0x0
	s_clause 0x1
	s_load_dwordx2 s[10:11], s[4:5], 0x20
	s_load_dwordx4 s[0:3], s[4:5], 0x58
	v_mul_lo_u32 v3, s18, v11
	v_lshlrev_b64 v[1:2], 2, v[1:2]
	v_lshlrev_b64 v[5:6], 2, v[3:4]
	s_waitcnt lgkmcnt(0)
	s_mul_i32 s5, s15, s12
	s_mul_hi_u32 s15, s14, s12
	s_mul_i32 s4, s14, s12
	s_add_i32 s5, s15, s5
	s_add_u32 s14, s10, s6
	s_addc_u32 s15, s11, s7
	s_lshl_b64 s[4:5], s[4:5], 2
	s_add_u32 s4, s0, s4
	s_addc_u32 s5, s1, s5
	s_lshl_b64 s[0:1], s[20:21], 2
	s_add_u32 s0, s4, s0
	s_addc_u32 s1, s5, s1
	s_lshl_b32 s4, s18, 2
	v_add_co_u32 v9, vcc_lo, s0, v1
	v_add_nc_u32_e32 v3, s4, v3
	v_add_co_ci_u32_e32 v12, vcc_lo, s1, v2, vcc_lo
	v_add_co_u32 v5, vcc_lo, v9, v5
	v_lshlrev_b64 v[1:2], 2, v[3:4]
	v_add_nc_u32_e32 v3, s4, v3
	v_add_co_ci_u32_e32 v6, vcc_lo, v12, v6, vcc_lo
	v_lshlrev_b64 v[7:8], 2, v[3:4]
	v_add_nc_u32_e32 v3, s4, v3
	v_add_co_u32 v1, vcc_lo, v9, v1
	v_add_co_ci_u32_e32 v2, vcc_lo, v12, v2, vcc_lo
	v_lshlrev_b64 v[3:4], 2, v[3:4]
	v_add_co_u32 v7, vcc_lo, v9, v7
	v_add_co_ci_u32_e32 v8, vcc_lo, v12, v8, vcc_lo
	v_add_co_u32 v3, vcc_lo, v9, v3
	v_add_co_ci_u32_e32 v4, vcc_lo, v12, v4, vcc_lo
	s_clause 0x3
	global_load_dword v5, v[5:6], off
	global_load_dword v1, v[1:2], off
	;; [unrolled: 1-line block ×4, first 2 shown]
	v_lshrrev_b32_e32 v9, 4, v0
	v_and_b32_e32 v8, 15, v0
	v_lshlrev_b16 v4, 4, v10
	v_mov_b32_e32 v6, 2
	v_lshlrev_b32_e32 v12, 2, v11
	v_lshlrev_b32_e32 v7, 6, v9
	;; [unrolled: 1-line block ×3, first 2 shown]
	v_or_b32_sdwa v11, v4, v11 dst_sel:DWORD dst_unused:UNUSED_PAD src0_sel:WORD_0 src1_sel:DWORD
	v_lshlrev_b32_sdwa v4, v6, v4 dst_sel:DWORD dst_unused:UNUSED_PAD src0_sel:DWORD src1_sel:WORD_0
	s_clause 0x2
	s_load_dwordx4 s[4:7], s[10:11], 0x0
	s_load_dwordx2 s[0:1], s[10:11], 0x10
	s_load_dwordx2 s[10:11], s[14:15], 0x0
	v_cmp_gt_u32_e32 vcc_lo, 0x100, v0
	v_add3_u32 v7, 0, v7, v10
	v_lshl_add_u32 v6, v11, 2, 0
	v_add3_u32 v4, 0, v12, v4
	s_waitcnt vmcnt(3)
	ds_write_b32 v6, v5
	s_waitcnt vmcnt(1)
	ds_write2_b32 v4, v1, v2 offset0:4 offset1:8
	s_waitcnt vmcnt(0)
	ds_write_b32 v4, v3 offset:48
	s_waitcnt lgkmcnt(0)
	s_barrier
	buffer_gl0_inv
	ds_read2st64_b32 v[1:2], v7 offset1:7
	ds_read2st64_b32 v[3:4], v7 offset0:14 offset1:21
	v_mad_u32_u24 v14, 0xc0, v9, v7
	s_waitcnt lgkmcnt(0)
	s_barrier
	buffer_gl0_inv
	v_pk_add_f16 v5, v1, v3 neg_lo:[0,1] neg_hi:[0,1]
	v_pk_add_f16 v6, v2, v4 neg_lo:[0,1] neg_hi:[0,1]
	v_pk_fma_f16 v1, v1, 2.0, v5 op_sel_hi:[1,0,1] neg_lo:[0,0,1] neg_hi:[0,0,1]
	v_pk_fma_f16 v2, v2, 2.0, v6 op_sel_hi:[1,0,1] neg_lo:[0,0,1] neg_hi:[0,0,1]
	v_pk_add_f16 v4, v5, v6 op_sel:[0,1] op_sel_hi:[1,0]
	v_pk_add_f16 v6, v5, v6 op_sel:[0,1] op_sel_hi:[1,0] neg_lo:[0,1] neg_hi:[0,1]
	v_pk_add_f16 v3, v1, v2 neg_lo:[0,1] neg_hi:[0,1]
	v_lshrrev_b32_e32 v2, 16, v1
	v_bfi_b32 v12, 0xffff, v4, v6
	v_lshrrev_b32_e32 v11, 16, v3
	v_fma_f16 v1, v1, 2.0, -v3
	ds_write2_b32 v14, v3, v12 offset0:32 offset1:48
	v_fma_f16 v2, v2, 2.0, -v11
	v_lshlrev_b32_e32 v13, 16, v2
	v_pk_fma_f16 v2, v5, 2.0, v12 op_sel_hi:[1,0,1] neg_lo:[0,0,1] neg_hi:[0,0,1]
	v_or_b32_sdwa v1, v13, v1 dst_sel:DWORD dst_unused:UNUSED_PAD src0_sel:DWORD src1_sel:WORD_0
	v_lshrrev_b32_e32 v13, 16, v6
	v_lshrrev_b32_e32 v12, 16, v2
                                        ; implicit-def: $vgpr6
	ds_write2_b32 v14, v1, v2 offset1:16
	s_waitcnt lgkmcnt(0)
	s_barrier
	buffer_gl0_inv
                                        ; implicit-def: $vgpr14
	s_and_saveexec_b32 s1, vcc_lo
	s_cbranch_execz .LBB0_2
; %bb.1:
	v_and_b32_e32 v1, 0xf0, v0
	v_lshlrev_b32_e32 v1, 2, v1
	v_add3_u32 v11, 0, v1, v10
	ds_read2st64_b32 v[1:2], v11 offset1:4
	ds_read2st64_b32 v[3:4], v11 offset0:8 offset1:12
	ds_read2st64_b32 v[5:6], v11 offset0:16 offset1:20
	ds_read_b32 v14, v11 offset:6144
	s_waitcnt lgkmcnt(3)
	v_lshrrev_b32_e32 v12, 16, v2
	s_waitcnt lgkmcnt(2)
	v_lshrrev_b32_e32 v11, 16, v3
	v_lshrrev_b32_e32 v13, 16, v4
	s_waitcnt lgkmcnt(1)
	v_lshrrev_b32_e32 v16, 16, v5
	;; [unrolled: 3-line block ×3, first 2 shown]
.LBB0_2:
	s_or_b32 exec_lo, exec_lo, s1
	s_barrier
	buffer_gl0_inv
	s_and_saveexec_b32 s1, vcc_lo
	s_cbranch_execz .LBB0_4
; %bb.3:
	v_bfe_u32 v24, v0, 4, 2
	v_lshrrev_b32_e32 v25, 6, v0
	v_mul_u32_u24_e32 v18, 6, v24
	v_mul_u32_u24_e32 v25, 28, v25
	v_lshlrev_b32_e32 v22, 2, v18
	v_or_b32_e32 v24, v25, v24
	s_clause 0x1
	global_load_dwordx4 v[18:21], v22, s[8:9]
	global_load_dwordx2 v[22:23], v22, s[8:9] offset:16
	v_lshlrev_b32_e32 v24, 6, v24
	v_add3_u32 v10, 0, v24, v10
	s_waitcnt vmcnt(1)
	v_mul_f16_sdwa v24, v12, v18 dst_sel:DWORD dst_unused:UNUSED_PAD src0_sel:DWORD src1_sel:WORD_1
	s_waitcnt vmcnt(0)
	v_mul_f16_sdwa v25, v17, v23 dst_sel:DWORD dst_unused:UNUSED_PAD src0_sel:DWORD src1_sel:WORD_1
	v_mul_f16_sdwa v28, v11, v19 dst_sel:DWORD dst_unused:UNUSED_PAD src0_sel:DWORD src1_sel:WORD_1
	;; [unrolled: 1-line block ×11, first 2 shown]
	v_fmac_f16_e32 v24, v2, v18
	v_fmac_f16_e32 v25, v14, v23
	;; [unrolled: 1-line block ×4, first 2 shown]
	v_fma_f16 v2, v17, v23, -v30
	v_fma_f16 v3, v12, v18, -v31
	;; [unrolled: 1-line block ×4, first 2 shown]
	v_fmac_f16_e32 v26, v5, v21
	v_fmac_f16_e32 v27, v4, v20
	v_fma_f16 v4, v13, v20, -v32
	v_fma_f16 v5, v16, v21, -v33
	v_add_f16_e32 v15, v3, v2
	v_add_f16_e32 v17, v11, v6
	;; [unrolled: 1-line block ×4, first 2 shown]
	v_sub_f16_e32 v12, v24, v25
	v_sub_f16_e32 v13, v26, v27
	;; [unrolled: 1-line block ×3, first 2 shown]
	v_add_f16_e32 v16, v4, v5
	v_add_f16_e32 v19, v27, v26
	v_sub_f16_e32 v2, v3, v2
	v_sub_f16_e32 v3, v5, v4
	;; [unrolled: 1-line block ×3, first 2 shown]
	v_add_f16_e32 v22, v17, v15
	v_add_f16_e32 v25, v20, v18
	v_sub_f16_e32 v5, v12, v13
	v_sub_f16_e32 v6, v13, v14
	v_add_f16_e32 v11, v13, v14
	v_sub_f16_e32 v13, v15, v16
	v_sub_f16_e32 v21, v16, v17
	;; [unrolled: 1-line block ×6, first 2 shown]
	v_add_f16_e32 v3, v3, v4
	v_sub_f16_e32 v14, v14, v12
	v_sub_f16_e32 v4, v4, v2
	v_add_f16_e32 v16, v16, v22
	v_add_f16_e32 v19, v19, v25
	v_sub_f16_e32 v15, v17, v15
	v_sub_f16_e32 v17, v20, v18
	v_mul_f16_e32 v6, 0x3846, v6
	v_add_f16_e32 v11, v11, v12
	v_mul_f16_e32 v12, 0x3a52, v13
	v_mul_f16_e32 v13, 0x2b26, v21
	;; [unrolled: 1-line block ×4, first 2 shown]
	v_add_f16_e32 v2, v3, v2
	v_mul_f16_e32 v3, 0xbb00, v14
	v_mul_f16_e32 v23, 0xbb00, v4
	v_add_f16_sdwa v27, v16, v1 dst_sel:DWORD dst_unused:UNUSED_PAD src0_sel:DWORD src1_sel:WORD_1
	v_add_f16_e32 v1, v19, v1
	v_mul_f16_e32 v20, 0x2b26, v24
	v_fmamk_f16 v25, v5, 0xb574, v6
	v_fmamk_f16 v21, v21, 0x2b26, v12
	v_fmamk_f16 v24, v24, 0x2b26, v18
	v_fmamk_f16 v28, v26, 0xb574, v22
	v_fma_f16 v3, v5, 0x3574, -v3
	v_fma_f16 v5, v15, 0xb9e0, -v12
	;; [unrolled: 1-line block ×7, first 2 shown]
	v_fmamk_f16 v15, v16, 0xbcab, v27
	v_fmamk_f16 v16, v19, 0xbcab, v1
	v_fma_f16 v14, v17, 0x39e0, -v20
	v_fmac_f16_e32 v25, 0xb70e, v11
	v_fmac_f16_e32 v28, 0xb70e, v2
	;; [unrolled: 1-line block ×6, first 2 shown]
	v_lshlrev_b32_e32 v2, 16, v27
	v_add_f16_e32 v11, v21, v15
	v_add_f16_e32 v17, v24, v16
	;; [unrolled: 1-line block ×6, first 2 shown]
	v_or_b32_sdwa v1, v2, v1 dst_sel:DWORD dst_unused:UNUSED_PAD src0_sel:DWORD src1_sel:WORD_0
	v_add_f16_e32 v2, v25, v11
	v_add_f16_e32 v16, v3, v5
	v_sub_f16_e32 v3, v5, v3
	v_sub_f16_e32 v5, v11, v25
	v_add_f16_e32 v11, v28, v17
	v_sub_f16_e32 v15, v17, v28
	v_sub_f16_e32 v19, v13, v6
	v_add_f16_e32 v6, v6, v13
	v_add_f16_e32 v13, v18, v12
	v_sub_f16_e32 v17, v14, v4
	v_add_f16_e32 v4, v4, v14
	v_sub_f16_e32 v12, v12, v18
	v_pack_b32_f16 v5, v11, v5
	v_pack_b32_f16 v3, v13, v3
	;; [unrolled: 1-line block ×6, first 2 shown]
	ds_write2st64_b32 v10, v1, v5 offset1:1
	ds_write2st64_b32 v10, v3, v6 offset0:2 offset1:3
	ds_write2st64_b32 v10, v4, v11 offset0:4 offset1:5
	ds_write_b32 v10, v2 offset:1536
.LBB0_4:
	s_or_b32 exec_lo, exec_lo, s1
	v_mul_lo_u16 v1, v9, 37
	v_mov_b32_e32 v2, 3
	s_waitcnt lgkmcnt(0)
	s_barrier
	buffer_gl0_inv
	v_lshrrev_b16 v1, 10, v1
	v_or_b32_e32 v12, s16, v8
	v_mov_b32_e32 v6, 0x125
	s_mul_i32 s1, s11, s12
	v_mov_b32_e32 v11, 0
	v_mul_lo_u16 v1, v1, 28
	v_mad_u64_u32 v[4:5], null, s4, v12, 0
	v_mul_u32_u24_sdwa v0, v0, v6 dst_sel:DWORD dst_unused:UNUSED_PAD src0_sel:WORD_0 src1_sel:DWORD
	s_mul_hi_u32 s4, s10, s12
	v_sub_nc_u16 v10, v9, v1
	s_mul_i32 s6, s13, s6
	s_mov_b32 s7, 0
	v_lshrrev_b32_e32 v13, 17, v0
	v_mov_b32_e32 v0, v5
	v_mul_u32_u24_sdwa v1, v10, v2 dst_sel:DWORD dst_unused:UNUSED_PAD src0_sel:BYTE_0 src1_sel:DWORD
	v_mul_lo_u16 v5, 0x70, v13
	v_lshlrev_b32_e32 v1, 2, v1
	global_load_dwordx3 v[1:3], v1, s[8:9] offset:96
	ds_read2st64_b32 v[8:9], v7 offset1:7
	ds_read2st64_b32 v[6:7], v7 offset0:14 offset1:21
	s_mul_i32 s8, s10, s12
	s_add_i32 s9, s4, s1
	s_mul_i32 s1, s0, 28
	s_waitcnt lgkmcnt(1)
	v_lshrrev_b32_e32 v18, 16, v8
	s_waitcnt lgkmcnt(0)
	v_lshrrev_b32_e32 v16, 16, v6
	v_lshrrev_b32_e32 v17, 16, v7
	s_waitcnt vmcnt(0)
	v_mad_u64_u32 v[12:13], null, s5, v12, v[0:1]
	v_add_nc_u32_sdwa v0, v5, v10 dst_sel:DWORD dst_unused:UNUSED_PAD src0_sel:WORD_0 src1_sel:BYTE_0
	v_mul_f16_sdwa v22, v1, v9 dst_sel:DWORD dst_unused:UNUSED_PAD src0_sel:WORD_1 src1_sel:DWORD
	v_mul_f16_sdwa v23, v2, v6 dst_sel:DWORD dst_unused:UNUSED_PAD src0_sel:WORD_1 src1_sel:DWORD
	;; [unrolled: 1-line block ×3, first 2 shown]
	s_lshl_b64 s[4:5], s[8:9], 2
	v_mul_lo_u32 v10, v0, s0
	v_lshrrev_b32_e32 v0, 16, v9
	v_mov_b32_e32 v5, v12
	v_mul_f16_sdwa v25, v2, v16 dst_sel:DWORD dst_unused:UNUSED_PAD src0_sel:WORD_1 src1_sel:DWORD
	v_mul_f16_sdwa v26, v3, v17 dst_sel:DWORD dst_unused:UNUSED_PAD src0_sel:WORD_1 src1_sel:DWORD
	v_fma_f16 v16, v2, v16, -v23
	v_mul_f16_sdwa v21, v1, v0 dst_sel:DWORD dst_unused:UNUSED_PAD src0_sel:WORD_1 src1_sel:DWORD
	v_fma_f16 v0, v1, v0, -v22
	v_fma_f16 v17, v3, v17, -v24
	v_lshlrev_b64 v[4:5], 2, v[4:5]
	s_add_u32 s4, s2, s4
	s_addc_u32 s5, s3, s5
	s_lshl_b64 s[2:3], s[6:7], 2
	v_lshlrev_b64 v[12:13], 2, v[10:11]
	v_add_nc_u32_e32 v10, s1, v10
	s_add_u32 s0, s4, s2
	v_fmac_f16_e32 v21, v1, v9
	v_fmac_f16_e32 v25, v2, v6
	;; [unrolled: 1-line block ×3, first 2 shown]
	v_sub_f16_e32 v6, v18, v16
	v_sub_f16_e32 v7, v0, v17
	s_addc_u32 s2, s5, s3
	v_add_co_u32 v19, vcc_lo, s0, v4
	v_add_co_ci_u32_e32 v20, vcc_lo, s2, v5, vcc_lo
	v_lshlrev_b64 v[4:5], 2, v[10:11]
	v_add_nc_u32_e32 v10, s1, v10
	v_sub_f16_e32 v9, v8, v25
	v_sub_f16_e32 v16, v21, v26
	v_fma_f16 v17, v18, 2.0, -v6
	v_fma_f16 v2, v0, 2.0, -v7
	v_add_co_u32 v12, vcc_lo, v19, v12
	v_add_co_ci_u32_e32 v13, vcc_lo, v20, v13, vcc_lo
	v_lshlrev_b64 v[14:15], 2, v[10:11]
	v_add_nc_u32_e32 v10, s1, v10
	v_add_co_u32 v0, vcc_lo, v19, v4
	v_fma_f16 v8, v8, 2.0, -v9
	v_fma_f16 v4, v21, 2.0, -v16
	v_sub_f16_e32 v18, v17, v2
	v_lshlrev_b64 v[2:3], 2, v[10:11]
	v_sub_f16_e32 v10, v6, v16
	v_add_f16_e32 v7, v9, v7
	v_sub_f16_e32 v11, v8, v4
	v_fma_f16 v16, v17, 2.0, -v18
	v_add_co_ci_u32_e32 v1, vcc_lo, v20, v5, vcc_lo
	v_add_co_u32 v4, vcc_lo, v19, v14
	v_fma_f16 v8, v8, 2.0, -v11
	v_lshlrev_b32_e32 v14, 16, v16
	v_fma_f16 v9, v9, 2.0, -v7
	v_fma_f16 v6, v6, 2.0, -v10
	v_add_co_ci_u32_e32 v5, vcc_lo, v20, v15, vcc_lo
	v_or_b32_sdwa v8, v14, v8 dst_sel:DWORD dst_unused:UNUSED_PAD src0_sel:DWORD src1_sel:WORD_0
	v_add_co_u32 v2, vcc_lo, v19, v2
	v_pack_b32_f16 v6, v9, v6
	v_pack_b32_f16 v9, v11, v18
	v_add_co_ci_u32_e32 v3, vcc_lo, v20, v3, vcc_lo
	v_pack_b32_f16 v7, v7, v10
	global_store_dword v[12:13], v8, off
	global_store_dword v[0:1], v6, off
	;; [unrolled: 1-line block ×4, first 2 shown]
	s_endpgm
	.section	.rodata,"a",@progbits
	.p2align	6, 0x0
	.amdhsa_kernel fft_rtc_back_len112_factors_4_7_4_wgs_448_tpt_28_half_op_CI_CI_sbrc_z_xy_aligned_dirReg
		.amdhsa_group_segment_fixed_size 0
		.amdhsa_private_segment_fixed_size 0
		.amdhsa_kernarg_size 104
		.amdhsa_user_sgpr_count 6
		.amdhsa_user_sgpr_private_segment_buffer 1
		.amdhsa_user_sgpr_dispatch_ptr 0
		.amdhsa_user_sgpr_queue_ptr 0
		.amdhsa_user_sgpr_kernarg_segment_ptr 1
		.amdhsa_user_sgpr_dispatch_id 0
		.amdhsa_user_sgpr_flat_scratch_init 0
		.amdhsa_user_sgpr_private_segment_size 0
		.amdhsa_wavefront_size32 1
		.amdhsa_uses_dynamic_stack 0
		.amdhsa_system_sgpr_private_segment_wavefront_offset 0
		.amdhsa_system_sgpr_workgroup_id_x 1
		.amdhsa_system_sgpr_workgroup_id_y 0
		.amdhsa_system_sgpr_workgroup_id_z 0
		.amdhsa_system_sgpr_workgroup_info 0
		.amdhsa_system_vgpr_workitem_id 0
		.amdhsa_next_free_vgpr 36
		.amdhsa_next_free_sgpr 22
		.amdhsa_reserve_vcc 1
		.amdhsa_reserve_flat_scratch 0
		.amdhsa_float_round_mode_32 0
		.amdhsa_float_round_mode_16_64 0
		.amdhsa_float_denorm_mode_32 3
		.amdhsa_float_denorm_mode_16_64 3
		.amdhsa_dx10_clamp 1
		.amdhsa_ieee_mode 1
		.amdhsa_fp16_overflow 0
		.amdhsa_workgroup_processor_mode 1
		.amdhsa_memory_ordered 1
		.amdhsa_forward_progress 0
		.amdhsa_shared_vgpr_count 0
		.amdhsa_exception_fp_ieee_invalid_op 0
		.amdhsa_exception_fp_denorm_src 0
		.amdhsa_exception_fp_ieee_div_zero 0
		.amdhsa_exception_fp_ieee_overflow 0
		.amdhsa_exception_fp_ieee_underflow 0
		.amdhsa_exception_fp_ieee_inexact 0
		.amdhsa_exception_int_div_zero 0
	.end_amdhsa_kernel
	.text
.Lfunc_end0:
	.size	fft_rtc_back_len112_factors_4_7_4_wgs_448_tpt_28_half_op_CI_CI_sbrc_z_xy_aligned_dirReg, .Lfunc_end0-fft_rtc_back_len112_factors_4_7_4_wgs_448_tpt_28_half_op_CI_CI_sbrc_z_xy_aligned_dirReg
                                        ; -- End function
	.section	.AMDGPU.csdata,"",@progbits
; Kernel info:
; codeLenInByte = 2500
; NumSgprs: 24
; NumVgprs: 36
; ScratchSize: 0
; MemoryBound: 0
; FloatMode: 240
; IeeeMode: 1
; LDSByteSize: 0 bytes/workgroup (compile time only)
; SGPRBlocks: 2
; VGPRBlocks: 4
; NumSGPRsForWavesPerEU: 24
; NumVGPRsForWavesPerEU: 36
; Occupancy: 14
; WaveLimiterHint : 1
; COMPUTE_PGM_RSRC2:SCRATCH_EN: 0
; COMPUTE_PGM_RSRC2:USER_SGPR: 6
; COMPUTE_PGM_RSRC2:TRAP_HANDLER: 0
; COMPUTE_PGM_RSRC2:TGID_X_EN: 1
; COMPUTE_PGM_RSRC2:TGID_Y_EN: 0
; COMPUTE_PGM_RSRC2:TGID_Z_EN: 0
; COMPUTE_PGM_RSRC2:TIDIG_COMP_CNT: 0
	.text
	.p2alignl 6, 3214868480
	.fill 48, 4, 3214868480
	.type	__hip_cuid_8ac06be2c7801297,@object ; @__hip_cuid_8ac06be2c7801297
	.section	.bss,"aw",@nobits
	.globl	__hip_cuid_8ac06be2c7801297
__hip_cuid_8ac06be2c7801297:
	.byte	0                               ; 0x0
	.size	__hip_cuid_8ac06be2c7801297, 1

	.ident	"AMD clang version 19.0.0git (https://github.com/RadeonOpenCompute/llvm-project roc-6.4.0 25133 c7fe45cf4b819c5991fe208aaa96edf142730f1d)"
	.section	".note.GNU-stack","",@progbits
	.addrsig
	.addrsig_sym __hip_cuid_8ac06be2c7801297
	.amdgpu_metadata
---
amdhsa.kernels:
  - .args:
      - .actual_access:  read_only
        .address_space:  global
        .offset:         0
        .size:           8
        .value_kind:     global_buffer
      - .offset:         8
        .size:           8
        .value_kind:     by_value
      - .actual_access:  read_only
        .address_space:  global
        .offset:         16
        .size:           8
        .value_kind:     global_buffer
      - .actual_access:  read_only
        .address_space:  global
        .offset:         24
        .size:           8
        .value_kind:     global_buffer
      - .actual_access:  read_only
        .address_space:  global
        .offset:         32
        .size:           8
        .value_kind:     global_buffer
      - .offset:         40
        .size:           8
        .value_kind:     by_value
      - .actual_access:  read_only
        .address_space:  global
        .offset:         48
        .size:           8
        .value_kind:     global_buffer
      - .actual_access:  read_only
        .address_space:  global
        .offset:         56
        .size:           8
        .value_kind:     global_buffer
      - .offset:         64
        .size:           4
        .value_kind:     by_value
      - .actual_access:  read_only
        .address_space:  global
        .offset:         72
        .size:           8
        .value_kind:     global_buffer
      - .actual_access:  read_only
        .address_space:  global
        .offset:         80
        .size:           8
        .value_kind:     global_buffer
      - .actual_access:  read_only
        .address_space:  global
        .offset:         88
        .size:           8
        .value_kind:     global_buffer
      - .actual_access:  write_only
        .address_space:  global
        .offset:         96
        .size:           8
        .value_kind:     global_buffer
    .group_segment_fixed_size: 0
    .kernarg_segment_align: 8
    .kernarg_segment_size: 104
    .language:       OpenCL C
    .language_version:
      - 2
      - 0
    .max_flat_workgroup_size: 448
    .name:           fft_rtc_back_len112_factors_4_7_4_wgs_448_tpt_28_half_op_CI_CI_sbrc_z_xy_aligned_dirReg
    .private_segment_fixed_size: 0
    .sgpr_count:     24
    .sgpr_spill_count: 0
    .symbol:         fft_rtc_back_len112_factors_4_7_4_wgs_448_tpt_28_half_op_CI_CI_sbrc_z_xy_aligned_dirReg.kd
    .uniform_work_group_size: 1
    .uses_dynamic_stack: false
    .vgpr_count:     36
    .vgpr_spill_count: 0
    .wavefront_size: 32
    .workgroup_processor_mode: 1
amdhsa.target:   amdgcn-amd-amdhsa--gfx1030
amdhsa.version:
  - 1
  - 2
...

	.end_amdgpu_metadata
